;; amdgpu-corpus repo=ROCm/rocFFT kind=compiled arch=gfx1030 opt=O3
	.text
	.amdgcn_target "amdgcn-amd-amdhsa--gfx1030"
	.amdhsa_code_object_version 6
	.protected	fft_rtc_back_len300_factors_10_10_3_wgs_60_tpt_30_halfLds_sp_ip_CI_unitstride_sbrr_R2C_dirReg ; -- Begin function fft_rtc_back_len300_factors_10_10_3_wgs_60_tpt_30_halfLds_sp_ip_CI_unitstride_sbrr_R2C_dirReg
	.globl	fft_rtc_back_len300_factors_10_10_3_wgs_60_tpt_30_halfLds_sp_ip_CI_unitstride_sbrr_R2C_dirReg
	.p2align	8
	.type	fft_rtc_back_len300_factors_10_10_3_wgs_60_tpt_30_halfLds_sp_ip_CI_unitstride_sbrr_R2C_dirReg,@function
fft_rtc_back_len300_factors_10_10_3_wgs_60_tpt_30_halfLds_sp_ip_CI_unitstride_sbrr_R2C_dirReg: ; @fft_rtc_back_len300_factors_10_10_3_wgs_60_tpt_30_halfLds_sp_ip_CI_unitstride_sbrr_R2C_dirReg
; %bb.0:
	s_clause 0x2
	s_load_dwordx4 s[8:11], s[4:5], 0x0
	s_load_dwordx2 s[2:3], s[4:5], 0x50
	s_load_dwordx2 s[12:13], s[4:5], 0x18
	v_mul_u32_u24_e32 v1, 0x889, v0
	v_mov_b32_e32 v3, 0
	v_lshrrev_b32_e32 v9, 16, v1
	v_mov_b32_e32 v1, 0
	v_mov_b32_e32 v6, v3
	v_mov_b32_e32 v2, 0
	v_lshl_add_u32 v5, s6, 1, v9
	s_waitcnt lgkmcnt(0)
	v_cmp_lt_u64_e64 s0, s[10:11], 2
	s_and_b32 vcc_lo, exec_lo, s0
	s_cbranch_vccnz .LBB0_8
; %bb.1:
	s_load_dwordx2 s[0:1], s[4:5], 0x10
	v_mov_b32_e32 v1, 0
	s_add_u32 s6, s12, 8
	v_mov_b32_e32 v2, 0
	s_addc_u32 s7, s13, 0
	s_mov_b64 s[16:17], 1
	s_waitcnt lgkmcnt(0)
	s_add_u32 s14, s0, 8
	s_addc_u32 s15, s1, 0
.LBB0_2:                                ; =>This Inner Loop Header: Depth=1
	s_load_dwordx2 s[18:19], s[14:15], 0x0
                                        ; implicit-def: $vgpr7_vgpr8
	s_mov_b32 s0, exec_lo
	s_waitcnt lgkmcnt(0)
	v_or_b32_e32 v4, s19, v6
	v_cmpx_ne_u64_e32 0, v[3:4]
	s_xor_b32 s1, exec_lo, s0
	s_cbranch_execz .LBB0_4
; %bb.3:                                ;   in Loop: Header=BB0_2 Depth=1
	v_cvt_f32_u32_e32 v4, s18
	v_cvt_f32_u32_e32 v7, s19
	s_sub_u32 s0, 0, s18
	s_subb_u32 s20, 0, s19
	v_fmac_f32_e32 v4, 0x4f800000, v7
	v_rcp_f32_e32 v4, v4
	v_mul_f32_e32 v4, 0x5f7ffffc, v4
	v_mul_f32_e32 v7, 0x2f800000, v4
	v_trunc_f32_e32 v7, v7
	v_fmac_f32_e32 v4, 0xcf800000, v7
	v_cvt_u32_f32_e32 v7, v7
	v_cvt_u32_f32_e32 v4, v4
	v_mul_lo_u32 v8, s0, v7
	v_mul_hi_u32 v10, s0, v4
	v_mul_lo_u32 v11, s20, v4
	v_add_nc_u32_e32 v8, v10, v8
	v_mul_lo_u32 v10, s0, v4
	v_add_nc_u32_e32 v8, v8, v11
	v_mul_hi_u32 v11, v4, v10
	v_mul_lo_u32 v12, v4, v8
	v_mul_hi_u32 v13, v4, v8
	v_mul_hi_u32 v14, v7, v10
	v_mul_lo_u32 v10, v7, v10
	v_mul_hi_u32 v15, v7, v8
	v_mul_lo_u32 v8, v7, v8
	v_add_co_u32 v11, vcc_lo, v11, v12
	v_add_co_ci_u32_e32 v12, vcc_lo, 0, v13, vcc_lo
	v_add_co_u32 v10, vcc_lo, v11, v10
	v_add_co_ci_u32_e32 v10, vcc_lo, v12, v14, vcc_lo
	v_add_co_ci_u32_e32 v11, vcc_lo, 0, v15, vcc_lo
	v_add_co_u32 v8, vcc_lo, v10, v8
	v_add_co_ci_u32_e32 v10, vcc_lo, 0, v11, vcc_lo
	v_add_co_u32 v4, vcc_lo, v4, v8
	v_add_co_ci_u32_e32 v7, vcc_lo, v7, v10, vcc_lo
	v_mul_hi_u32 v8, s0, v4
	v_mul_lo_u32 v11, s20, v4
	v_mul_lo_u32 v10, s0, v7
	v_add_nc_u32_e32 v8, v8, v10
	v_mul_lo_u32 v10, s0, v4
	v_add_nc_u32_e32 v8, v8, v11
	v_mul_hi_u32 v11, v4, v10
	v_mul_lo_u32 v12, v4, v8
	v_mul_hi_u32 v13, v4, v8
	v_mul_hi_u32 v14, v7, v10
	v_mul_lo_u32 v10, v7, v10
	v_mul_hi_u32 v15, v7, v8
	v_mul_lo_u32 v8, v7, v8
	v_add_co_u32 v11, vcc_lo, v11, v12
	v_add_co_ci_u32_e32 v12, vcc_lo, 0, v13, vcc_lo
	v_add_co_u32 v10, vcc_lo, v11, v10
	v_add_co_ci_u32_e32 v10, vcc_lo, v12, v14, vcc_lo
	v_add_co_ci_u32_e32 v11, vcc_lo, 0, v15, vcc_lo
	v_add_co_u32 v8, vcc_lo, v10, v8
	v_add_co_ci_u32_e32 v10, vcc_lo, 0, v11, vcc_lo
	v_add_co_u32 v4, vcc_lo, v4, v8
	v_add_co_ci_u32_e32 v12, vcc_lo, v7, v10, vcc_lo
	v_mul_hi_u32 v14, v5, v4
	v_mad_u64_u32 v[10:11], null, v6, v4, 0
	v_mad_u64_u32 v[7:8], null, v5, v12, 0
	;; [unrolled: 1-line block ×3, first 2 shown]
	v_add_co_u32 v4, vcc_lo, v14, v7
	v_add_co_ci_u32_e32 v7, vcc_lo, 0, v8, vcc_lo
	v_add_co_u32 v4, vcc_lo, v4, v10
	v_add_co_ci_u32_e32 v4, vcc_lo, v7, v11, vcc_lo
	v_add_co_ci_u32_e32 v7, vcc_lo, 0, v13, vcc_lo
	v_add_co_u32 v4, vcc_lo, v4, v12
	v_add_co_ci_u32_e32 v10, vcc_lo, 0, v7, vcc_lo
	v_mul_lo_u32 v11, s19, v4
	v_mad_u64_u32 v[7:8], null, s18, v4, 0
	v_mul_lo_u32 v12, s18, v10
	v_sub_co_u32 v7, vcc_lo, v5, v7
	v_add3_u32 v8, v8, v12, v11
	v_sub_nc_u32_e32 v11, v6, v8
	v_subrev_co_ci_u32_e64 v11, s0, s19, v11, vcc_lo
	v_add_co_u32 v12, s0, v4, 2
	v_add_co_ci_u32_e64 v13, s0, 0, v10, s0
	v_sub_co_u32 v14, s0, v7, s18
	v_sub_co_ci_u32_e32 v8, vcc_lo, v6, v8, vcc_lo
	v_subrev_co_ci_u32_e64 v11, s0, 0, v11, s0
	v_cmp_le_u32_e32 vcc_lo, s18, v14
	v_cmp_eq_u32_e64 s0, s19, v8
	v_cndmask_b32_e64 v14, 0, -1, vcc_lo
	v_cmp_le_u32_e32 vcc_lo, s19, v11
	v_cndmask_b32_e64 v15, 0, -1, vcc_lo
	v_cmp_le_u32_e32 vcc_lo, s18, v7
	;; [unrolled: 2-line block ×3, first 2 shown]
	v_cndmask_b32_e64 v16, 0, -1, vcc_lo
	v_cmp_eq_u32_e32 vcc_lo, s19, v11
	v_cndmask_b32_e64 v7, v16, v7, s0
	v_cndmask_b32_e32 v11, v15, v14, vcc_lo
	v_add_co_u32 v14, vcc_lo, v4, 1
	v_add_co_ci_u32_e32 v15, vcc_lo, 0, v10, vcc_lo
	v_cmp_ne_u32_e32 vcc_lo, 0, v11
	v_cndmask_b32_e32 v8, v15, v13, vcc_lo
	v_cndmask_b32_e32 v11, v14, v12, vcc_lo
	v_cmp_ne_u32_e32 vcc_lo, 0, v7
	v_cndmask_b32_e32 v8, v10, v8, vcc_lo
	v_cndmask_b32_e32 v7, v4, v11, vcc_lo
.LBB0_4:                                ;   in Loop: Header=BB0_2 Depth=1
	s_andn2_saveexec_b32 s0, s1
	s_cbranch_execz .LBB0_6
; %bb.5:                                ;   in Loop: Header=BB0_2 Depth=1
	v_cvt_f32_u32_e32 v4, s18
	s_sub_i32 s1, 0, s18
	v_rcp_iflag_f32_e32 v4, v4
	v_mul_f32_e32 v4, 0x4f7ffffe, v4
	v_cvt_u32_f32_e32 v4, v4
	v_mul_lo_u32 v7, s1, v4
	v_mul_hi_u32 v7, v4, v7
	v_add_nc_u32_e32 v4, v4, v7
	v_mul_hi_u32 v4, v5, v4
	v_mul_lo_u32 v7, v4, s18
	v_add_nc_u32_e32 v8, 1, v4
	v_sub_nc_u32_e32 v7, v5, v7
	v_subrev_nc_u32_e32 v10, s18, v7
	v_cmp_le_u32_e32 vcc_lo, s18, v7
	v_cndmask_b32_e32 v7, v7, v10, vcc_lo
	v_cndmask_b32_e32 v4, v4, v8, vcc_lo
	v_cmp_le_u32_e32 vcc_lo, s18, v7
	v_add_nc_u32_e32 v8, 1, v4
	v_cndmask_b32_e32 v7, v4, v8, vcc_lo
	v_mov_b32_e32 v8, v3
.LBB0_6:                                ;   in Loop: Header=BB0_2 Depth=1
	s_or_b32 exec_lo, exec_lo, s0
	s_load_dwordx2 s[0:1], s[6:7], 0x0
	v_mul_lo_u32 v4, v8, s18
	v_mul_lo_u32 v12, v7, s19
	v_mad_u64_u32 v[10:11], null, v7, s18, 0
	s_add_u32 s16, s16, 1
	s_addc_u32 s17, s17, 0
	s_add_u32 s6, s6, 8
	s_addc_u32 s7, s7, 0
	;; [unrolled: 2-line block ×3, first 2 shown]
	v_add3_u32 v4, v11, v12, v4
	v_sub_co_u32 v5, vcc_lo, v5, v10
	v_sub_co_ci_u32_e32 v4, vcc_lo, v6, v4, vcc_lo
	s_waitcnt lgkmcnt(0)
	v_mul_lo_u32 v6, s1, v5
	v_mul_lo_u32 v4, s0, v4
	v_mad_u64_u32 v[1:2], null, s0, v5, v[1:2]
	v_cmp_ge_u64_e64 s0, s[16:17], s[10:11]
	s_and_b32 vcc_lo, exec_lo, s0
	v_add3_u32 v2, v6, v2, v4
	s_cbranch_vccnz .LBB0_9
; %bb.7:                                ;   in Loop: Header=BB0_2 Depth=1
	v_mov_b32_e32 v5, v7
	v_mov_b32_e32 v6, v8
	s_branch .LBB0_2
.LBB0_8:
	v_mov_b32_e32 v8, v6
	v_mov_b32_e32 v7, v5
.LBB0_9:
	s_lshl_b64 s[0:1], s[10:11], 3
	v_mul_hi_u32 v3, 0x8888889, v0
	s_add_u32 s0, s12, s0
	s_addc_u32 s1, s13, s1
	s_load_dwordx2 s[4:5], s[4:5], 0x20
	s_load_dwordx2 s[0:1], s[0:1], 0x0
	v_and_b32_e32 v4, 1, v9
	v_mul_u32_u24_e32 v3, 30, v3
	v_sub_nc_u32_e32 v16, v0, v3
	v_add_nc_u32_e32 v21, 30, v16
	v_add_nc_u32_e32 v23, 60, v16
	;; [unrolled: 1-line block ×3, first 2 shown]
	s_waitcnt lgkmcnt(0)
	v_cmp_gt_u64_e32 vcc_lo, s[4:5], v[7:8]
	v_mul_lo_u32 v3, s0, v8
	v_mul_lo_u32 v5, s1, v7
	v_mad_u64_u32 v[0:1], null, s0, v7, v[1:2]
	v_cmp_le_u64_e64 s1, s[4:5], v[7:8]
	v_cmp_eq_u32_e64 s0, 1, v4
	v_add3_u32 v1, v5, v1, v3
	s_and_saveexec_b32 s4, s1
	s_xor_b32 s1, exec_lo, s4
; %bb.10:
	v_add_nc_u32_e32 v21, 30, v16
	v_add_nc_u32_e32 v23, 60, v16
	;; [unrolled: 1-line block ×3, first 2 shown]
; %bb.11:
	s_or_saveexec_b32 s1, s1
	v_cndmask_b32_e64 v2, 0, 0x12d, s0
	v_lshlrev_b64 v[18:19], 3, v[0:1]
	v_lshlrev_b32_e32 v22, 3, v16
	v_lshlrev_b32_e32 v0, 3, v2
	s_xor_b32 exec_lo, exec_lo, s1
	s_cbranch_execz .LBB0_13
; %bb.12:
	v_mov_b32_e32 v17, 0
	v_add_co_u32 v3, s0, s2, v18
	v_add_co_ci_u32_e64 v4, s0, s3, v19, s0
	v_lshlrev_b64 v[1:2], 3, v[16:17]
	v_add3_u32 v15, 0, v0, v22
	v_add_nc_u32_e32 v17, 0x400, v15
	v_add_co_u32 v1, s0, v3, v1
	v_add_co_ci_u32_e64 v2, s0, v4, v2, s0
	s_clause 0x3
	global_load_dwordx2 v[3:4], v[1:2], off
	global_load_dwordx2 v[5:6], v[1:2], off offset:240
	global_load_dwordx2 v[7:8], v[1:2], off offset:480
	global_load_dwordx2 v[9:10], v[1:2], off offset:720
	v_add_co_u32 v11, s0, 0x800, v1
	v_add_co_ci_u32_e64 v12, s0, 0, v2, s0
	s_clause 0x5
	global_load_dwordx2 v[13:14], v[1:2], off offset:960
	global_load_dwordx2 v[24:25], v[1:2], off offset:1200
	;; [unrolled: 1-line block ×6, first 2 shown]
	s_waitcnt vmcnt(8)
	ds_write2_b64 v15, v[3:4], v[5:6] offset1:30
	s_waitcnt vmcnt(6)
	ds_write2_b64 v15, v[7:8], v[9:10] offset0:60 offset1:90
	s_waitcnt vmcnt(4)
	ds_write2_b64 v15, v[13:14], v[24:25] offset0:120 offset1:150
	;; [unrolled: 2-line block ×4, first 2 shown]
.LBB0_13:
	s_or_b32 exec_lo, exec_lo, s1
	v_add_nc_u32_e32 v17, 0, v0
	v_add3_u32 v35, 0, v22, v0
	s_waitcnt lgkmcnt(0)
	s_barrier
	buffer_gl0_inv
	v_add_nc_u32_e32 v34, v17, v22
	ds_read2_b64 v[1:4], v35 offset0:30 offset1:60
	ds_read2_b64 v[5:8], v35 offset0:90 offset1:120
	;; [unrolled: 1-line block ×4, first 2 shown]
	v_cmp_gt_u32_e64 s0, 10, v16
	ds_read_b64 v[13:14], v34
	ds_read_b64 v[28:29], v35 offset:2160
	s_waitcnt lgkmcnt(0)
	s_barrier
	buffer_gl0_inv
	v_sub_f32_e32 v32, v3, v7
	v_add_f32_e32 v15, v7, v11
	v_add_f32_e32 v36, v3, v26
	v_sub_f32_e32 v37, v7, v3
	v_sub_f32_e32 v40, v3, v26
	v_add_f32_e32 v3, v13, v3
	v_sub_f32_e32 v30, v4, v27
	v_sub_f32_e32 v33, v26, v11
	;; [unrolled: 1-line block ×3, first 2 shown]
	v_fma_f32 v15, -0.5, v15, v13
	v_add_f32_e32 v3, v3, v7
	v_sub_f32_e32 v31, v8, v12
	v_add_f32_e32 v39, v8, v12
	v_add_f32_e32 v32, v32, v33
	v_fma_f32 v13, -0.5, v36, v13
	v_add_f32_e32 v33, v37, v38
	v_fmamk_f32 v38, v30, 0xbf737871, v15
	v_fmac_f32_e32 v15, 0x3f737871, v30
	v_add_f32_e32 v3, v3, v11
	v_add_f32_e32 v36, v14, v4
	v_fma_f32 v37, -0.5, v39, v14
	v_fmamk_f32 v39, v31, 0x3f737871, v13
	v_fmac_f32_e32 v13, 0xbf737871, v31
	v_fmac_f32_e32 v38, 0xbf167918, v31
	;; [unrolled: 1-line block ×3, first 2 shown]
	v_add_f32_e32 v26, v3, v26
	v_add_f32_e32 v3, v4, v27
	v_sub_f32_e32 v7, v7, v11
	v_sub_f32_e32 v11, v4, v8
	;; [unrolled: 1-line block ×3, first 2 shown]
	v_add_f32_e32 v36, v36, v8
	v_fmamk_f32 v41, v40, 0x3f737871, v37
	v_fmac_f32_e32 v14, -0.5, v3
	v_fmac_f32_e32 v37, 0xbf737871, v40
	v_add_f32_e32 v3, v11, v31
	v_sub_f32_e32 v4, v8, v4
	v_sub_f32_e32 v8, v12, v27
	v_add_f32_e32 v11, v9, v24
	v_fmac_f32_e32 v39, 0xbf167918, v30
	v_fmac_f32_e32 v13, 0x3f167918, v30
	v_add_f32_e32 v30, v36, v12
	v_fmac_f32_e32 v41, 0x3f167918, v7
	v_fmamk_f32 v31, v7, 0xbf737871, v14
	v_fmac_f32_e32 v37, 0xbf167918, v7
	v_add_f32_e32 v4, v4, v8
	v_fmac_f32_e32 v14, 0x3f737871, v7
	v_add_f32_e32 v7, v1, v5
	v_fma_f32 v8, -0.5, v11, v1
	v_sub_f32_e32 v11, v6, v29
	v_fmac_f32_e32 v38, 0x3e9e377a, v32
	v_fmac_f32_e32 v15, 0x3e9e377a, v32
	;; [unrolled: 1-line block ×4, first 2 shown]
	v_add_f32_e32 v30, v30, v27
	v_fmac_f32_e32 v41, 0x3e9e377a, v3
	v_fmac_f32_e32 v31, 0x3f167918, v40
	;; [unrolled: 1-line block ×4, first 2 shown]
	v_add_f32_e32 v3, v7, v9
	v_fmamk_f32 v12, v11, 0xbf737871, v8
	v_sub_f32_e32 v7, v10, v25
	v_sub_f32_e32 v27, v5, v9
	;; [unrolled: 1-line block ×3, first 2 shown]
	v_fmac_f32_e32 v8, 0x3f737871, v11
	v_add_f32_e32 v33, v5, v28
	v_fmac_f32_e32 v31, 0x3e9e377a, v4
	v_add_f32_e32 v3, v3, v24
	;; [unrolled: 2-line block ×3, first 2 shown]
	v_fmac_f32_e32 v8, 0x3f167918, v7
	v_fmac_f32_e32 v14, 0x3e9e377a, v4
	v_fma_f32 v4, -0.5, v33, v1
	v_add_f32_e32 v32, v3, v28
	v_fmac_f32_e32 v12, 0x3e9e377a, v27
	v_fmac_f32_e32 v8, 0x3e9e377a, v27
	v_add_f32_e32 v1, v10, v25
	v_fmamk_f32 v27, v7, 0x3f737871, v4
	v_sub_f32_e32 v3, v9, v5
	v_sub_f32_e32 v33, v24, v28
	v_fmac_f32_e32 v4, 0xbf737871, v7
	v_fma_f32 v36, -0.5, v1, v2
	v_sub_f32_e32 v1, v5, v28
	v_fmac_f32_e32 v27, 0xbf167918, v11
	v_add_f32_e32 v3, v3, v33
	v_fmac_f32_e32 v4, 0x3f167918, v11
	v_add_f32_e32 v5, v6, v29
	v_fmamk_f32 v11, v1, 0x3f737871, v36
	v_sub_f32_e32 v7, v9, v24
	v_fmac_f32_e32 v27, 0x3e9e377a, v3
	v_fmac_f32_e32 v4, 0x3e9e377a, v3
	v_fma_f32 v24, -0.5, v5, v2
	v_sub_f32_e32 v3, v6, v10
	v_sub_f32_e32 v5, v29, v25
	v_add_f32_e32 v2, v2, v6
	v_fmac_f32_e32 v11, 0x3f167918, v7
	v_fmamk_f32 v28, v7, 0xbf737871, v24
	v_fmac_f32_e32 v24, 0x3f737871, v7
	v_fmac_f32_e32 v36, 0xbf737871, v1
	v_add_f32_e32 v3, v3, v5
	v_sub_f32_e32 v6, v10, v6
	v_sub_f32_e32 v9, v25, v29
	v_fmac_f32_e32 v28, 0x3f167918, v1
	v_fmac_f32_e32 v24, 0xbf167918, v1
	;; [unrolled: 1-line block ×3, first 2 shown]
	v_add_f32_e32 v1, v2, v10
	v_fmac_f32_e32 v11, 0x3e9e377a, v3
	v_add_f32_e32 v5, v6, v9
	v_and_b32_e32 v10, 0xff, v16
	v_fmac_f32_e32 v36, 0x3e9e377a, v3
	v_add_f32_e32 v1, v1, v25
	v_mul_f32_e32 v25, 0xbf167918, v11
	v_fmac_f32_e32 v28, 0x3e9e377a, v5
	v_mul_f32_e32 v43, 0x3f167918, v12
	v_mul_f32_e32 v42, 0xbf167918, v36
	v_fmac_f32_e32 v24, 0x3e9e377a, v5
	v_fmac_f32_e32 v25, 0x3f4f1bbd, v12
	v_mul_lo_u16 v12, 0xcd, v10
	v_mul_f32_e32 v33, 0xbf737871, v28
	v_fmac_f32_e32 v42, 0xbf4f1bbd, v8
	v_mul_f32_e32 v44, 0x3e9e377a, v28
	v_mul_f32_e32 v40, 0xbf737871, v24
	v_lshrrev_b16 v46, 11, v12
	v_fmac_f32_e32 v33, 0x3e9e377a, v27
	v_add_f32_e32 v9, v15, v42
	v_sub_f32_e32 v28, v15, v42
	v_mul_f32_e32 v45, 0xbe9e377a, v24
	v_mul_lo_u16 v15, v46, 10
	v_mul_f32_e32 v36, 0xbf4f1bbd, v36
	v_add_f32_e32 v29, v1, v29
	v_add_f32_e32 v1, v26, v32
	v_add_f32_e32 v5, v39, v33
	v_fmac_f32_e32 v43, 0x3f4f1bbd, v11
	v_sub_f32_e32 v11, v26, v32
	v_sub_f32_e32 v26, v39, v33
	v_sub_nc_u16 v39, v16, v15
	v_mov_b32_e32 v15, 9
	v_fmac_f32_e32 v40, 0xbe9e377a, v4
	v_fmac_f32_e32 v44, 0x3f737871, v27
	;; [unrolled: 1-line block ×4, first 2 shown]
	v_add_f32_e32 v3, v38, v25
	v_add_f32_e32 v2, v30, v29
	;; [unrolled: 1-line block ×3, first 2 shown]
	v_sub_f32_e32 v12, v30, v29
	v_mad_u32_u24 v30, 0x48, v16, v35
	v_mul_u32_u24_sdwa v15, v39, v15 dst_sel:DWORD dst_unused:UNUSED_PAD src0_sel:BYTE_0 src1_sel:DWORD
	v_add_f32_e32 v7, v13, v40
	v_add_f32_e32 v6, v31, v44
	;; [unrolled: 1-line block ×4, first 2 shown]
	v_sub_f32_e32 v24, v38, v25
	v_sub_f32_e32 v25, v41, v43
	;; [unrolled: 1-line block ×6, first 2 shown]
	ds_write2_b64 v30, v[1:2], v[3:4] offset1:1
	ds_write2_b64 v30, v[5:6], v[7:8] offset0:2 offset1:3
	ds_write2_b64 v30, v[9:10], v[11:12] offset0:4 offset1:5
	;; [unrolled: 1-line block ×3, first 2 shown]
	v_lshlrev_b32_e32 v1, 3, v15
	v_lshl_add_u32 v38, v21, 3, v17
	v_lshl_add_u32 v37, v23, 3, v17
	ds_write2_b64 v30, v[13:14], v[28:29] offset0:8 offset1:9
	s_waitcnt lgkmcnt(0)
	s_barrier
	buffer_gl0_inv
	s_clause 0x4
	global_load_dwordx4 v[2:5], v1, s[8:9]
	global_load_dwordx4 v[6:9], v1, s[8:9] offset:16
	global_load_dwordx4 v[10:13], v1, s[8:9] offset:32
	;; [unrolled: 1-line block ×3, first 2 shown]
	global_load_dwordx2 v[14:15], v1, s[8:9] offset:64
	v_lshl_add_u32 v36, v20, 3, v17
	v_and_b32_e32 v1, 0xffff, v46
	v_mov_b32_e32 v40, 3
	ds_read_b64 v[32:33], v38
	ds_read_b64 v[47:48], v37
	ds_read2_b64 v[28:31], v35 offset0:120 offset1:150
	ds_read_b64 v[49:50], v36
	v_mad_u32_u24 v43, 0x320, v1, 0
	v_lshlrev_b32_sdwa v44, v40, v39 dst_sel:DWORD dst_unused:UNUSED_PAD src0_sel:DWORD src1_sel:BYTE_0
	v_add_nc_u32_e32 v1, 0x400, v35
	ds_read_b64 v[51:52], v34
	ds_read2_b64 v[39:42], v35 offset0:180 offset1:210
	v_add3_u32 v0, v43, v44, v0
	ds_read2_b64 v[43:46], v1 offset0:112 offset1:142
	s_waitcnt vmcnt(0) lgkmcnt(0)
	s_barrier
	buffer_gl0_inv
	v_mul_f32_e32 v53, v3, v33
	v_mul_f32_e32 v3, v3, v32
	;; [unrolled: 1-line block ×5, first 2 shown]
	v_fmac_f32_e32 v53, v2, v32
	v_fma_f32 v32, v2, v33, -v3
	v_mul_f32_e32 v2, v7, v49
	v_mul_f32_e32 v3, v9, v29
	v_fmac_f32_e32 v54, v4, v47
	v_fma_f32 v4, v4, v48, -v5
	v_mul_f32_e32 v5, v9, v28
	v_mul_f32_e32 v7, v11, v31
	;; [unrolled: 1-line block ×5, first 2 shown]
	v_fmac_f32_e32 v55, v6, v49
	v_fma_f32 v2, v6, v50, -v2
	v_mul_f32_e32 v6, v41, v25
	v_mul_f32_e32 v25, v44, v27
	;; [unrolled: 1-line block ×3, first 2 shown]
	v_fmac_f32_e32 v3, v8, v28
	v_fma_f32 v5, v8, v29, -v5
	v_mul_f32_e32 v8, v43, v27
	v_mul_f32_e32 v27, v46, v15
	v_fmac_f32_e32 v11, v39, v12
	v_fmac_f32_e32 v25, v43, v26
	v_mul_f32_e32 v15, v45, v15
	v_fmac_f32_e32 v7, v10, v30
	v_fma_f32 v9, v10, v31, -v9
	v_fma_f32 v10, v40, v12, -v13
	v_fma_f32 v8, v44, v26, -v8
	v_fmac_f32_e32 v33, v41, v24
	v_fma_f32 v6, v42, v24, -v6
	v_fmac_f32_e32 v27, v45, v14
	v_add_f32_e32 v13, v51, v54
	v_sub_f32_e32 v26, v54, v3
	v_sub_f32_e32 v28, v25, v11
	;; [unrolled: 1-line block ×4, first 2 shown]
	v_add_f32_e32 v39, v52, v4
	v_fma_f32 v12, v46, v14, -v15
	v_sub_f32_e32 v43, v4, v5
	v_sub_f32_e32 v44, v8, v10
	v_add_f32_e32 v47, v53, v55
	v_add_f32_e32 v14, v3, v11
	v_sub_f32_e32 v15, v4, v8
	v_sub_f32_e32 v24, v5, v10
	v_add_f32_e32 v40, v5, v10
	v_sub_f32_e32 v42, v3, v11
	v_add_f32_e32 v45, v4, v8
	;; [unrolled: 2-line block ×5, first 2 shown]
	v_add_f32_e32 v31, v32, v2
	v_add_f32_e32 v5, v39, v5
	;; [unrolled: 1-line block ×4, first 2 shown]
	v_sub_f32_e32 v41, v54, v25
	v_add_f32_e32 v48, v7, v33
	v_sub_f32_e32 v54, v55, v7
	v_add_f32_e32 v43, v43, v44
	;; [unrolled: 2-line block ×3, first 2 shown]
	v_add_f32_e32 v47, v2, v12
	v_sub_f32_e32 v46, v10, v8
	v_sub_f32_e32 v49, v2, v12
	;; [unrolled: 1-line block ×4, first 2 shown]
	v_add_f32_e32 v57, v55, v27
	v_sub_f32_e32 v55, v55, v27
	v_fma_f32 v40, -0.5, v40, v52
	v_fmac_f32_e32 v52, -0.5, v45
	v_sub_f32_e32 v45, v2, v9
	v_sub_f32_e32 v2, v9, v2
	v_add_f32_e32 v13, v13, v28
	v_add_f32_e32 v9, v31, v9
	v_fma_f32 v28, -0.5, v39, v32
	v_fmac_f32_e32 v32, -0.5, v47
	v_add_f32_e32 v4, v4, v46
	v_sub_f32_e32 v46, v12, v6
	v_add_f32_e32 v54, v54, v56
	v_sub_f32_e32 v56, v6, v12
	v_fma_f32 v58, -0.5, v14, v51
	v_fma_f32 v29, -0.5, v29, v51
	;; [unrolled: 1-line block ×3, first 2 shown]
	v_add_f32_e32 v6, v9, v6
	v_fmamk_f32 v9, v55, 0x3f737871, v28
	v_fmac_f32_e32 v53, -0.5, v57
	v_add_f32_e32 v7, v7, v33
	v_fmamk_f32 v33, v44, 0xbf737871, v32
	v_fmac_f32_e32 v32, 0x3f737871, v44
	v_fmac_f32_e32 v28, 0xbf737871, v55
	v_add_f32_e32 v31, v45, v46
	v_fmamk_f32 v45, v24, 0x3f737871, v29
	v_fmac_f32_e32 v29, 0xbf737871, v24
	v_add_f32_e32 v5, v5, v10
	v_fmamk_f32 v10, v49, 0xbf737871, v14
	v_fmac_f32_e32 v9, 0x3f167918, v44
	v_add_f32_e32 v2, v2, v56
	v_add_f32_e32 v3, v3, v11
	v_fmamk_f32 v47, v42, 0xbf737871, v52
	v_fmac_f32_e32 v52, 0x3f737871, v42
	v_fmamk_f32 v11, v50, 0x3f737871, v53
	v_fmac_f32_e32 v53, 0xbf737871, v50
	v_fmac_f32_e32 v33, 0x3f167918, v55
	;; [unrolled: 1-line block ×5, first 2 shown]
	v_fmamk_f32 v39, v15, 0xbf737871, v58
	v_fmamk_f32 v46, v41, 0x3f737871, v40
	v_fmac_f32_e32 v45, 0xbf167918, v15
	v_fmac_f32_e32 v29, 0x3f167918, v15
	;; [unrolled: 1-line block ×5, first 2 shown]
	v_add_f32_e32 v25, v3, v25
	v_fmac_f32_e32 v47, 0x3f167918, v41
	v_fmac_f32_e32 v52, 0xbf167918, v41
	v_add_f32_e32 v7, v7, v27
	v_fmac_f32_e32 v11, 0xbf167918, v49
	v_fmac_f32_e32 v53, 0x3f167918, v49
	;; [unrolled: 1-line block ×12, first 2 shown]
	v_mul_f32_e32 v15, 0xbf167918, v9
	v_mul_f32_e32 v30, 0x3f4f1bbd, v9
	v_fmac_f32_e32 v58, 0x3f167918, v24
	v_fmac_f32_e32 v47, 0x3e9e377a, v4
	;; [unrolled: 1-line block ×5, first 2 shown]
	v_add_f32_e32 v2, v25, v7
	v_sub_f32_e32 v4, v25, v7
	v_mul_f32_e32 v24, 0xbf737871, v33
	v_mul_f32_e32 v25, 0xbf737871, v32
	;; [unrolled: 1-line block ×4, first 2 shown]
	v_fmac_f32_e32 v40, 0xbf167918, v42
	v_fmac_f32_e32 v14, 0x3e9e377a, v54
	v_mul_f32_e32 v27, 0xbf167918, v28
	v_mul_f32_e32 v33, 0xbf4f1bbd, v28
	v_add_f32_e32 v5, v5, v8
	v_add_f32_e32 v6, v6, v12
	v_fmac_f32_e32 v39, 0x3e9e377a, v26
	v_fmac_f32_e32 v46, 0x3e9e377a, v43
	;; [unrolled: 1-line block ×12, first 2 shown]
	v_add_f32_e32 v3, v5, v6
	v_sub_f32_e32 v5, v5, v6
	v_add_f32_e32 v6, v39, v15
	v_add_f32_e32 v7, v46, v30
	;; [unrolled: 1-line block ×8, first 2 shown]
	v_sub_f32_e32 v14, v39, v15
	v_sub_f32_e32 v26, v45, v24
	;; [unrolled: 1-line block ×8, first 2 shown]
	ds_write2_b64 v0, v[2:3], v[6:7] offset1:10
	ds_write2_b64 v0, v[8:9], v[10:11] offset0:20 offset1:30
	ds_write2_b64 v0, v[12:13], v[4:5] offset0:40 offset1:50
	;; [unrolled: 1-line block ×4, first 2 shown]
	s_waitcnt lgkmcnt(0)
	s_barrier
	buffer_gl0_inv
	ds_read2_b64 v[12:15], v35 offset0:100 offset1:130
	ds_read2_b64 v[4:7], v35 offset0:160 offset1:200
	;; [unrolled: 1-line block ×3, first 2 shown]
	ds_read_b64 v[30:31], v34
	ds_read_b64 v[28:29], v38
	;; [unrolled: 1-line block ×3, first 2 shown]
                                        ; implicit-def: $vgpr3
	s_and_saveexec_b32 s1, s0
	s_cbranch_execz .LBB0_15
; %bb.14:
	ds_read_b64 v[24:25], v36
	ds_read2_b64 v[0:3], v1 offset0:62 offset1:162
.LBB0_15:
	s_or_b32 exec_lo, exec_lo, s1
	v_lshlrev_b32_e32 v32, 1, v16
	v_mov_b32_e32 v33, 0
	v_lshlrev_b64 v[39:40], 3, v[32:33]
	v_lshlrev_b32_e32 v32, 1, v21
	v_lshlrev_b64 v[43:44], 3, v[32:33]
	v_lshlrev_b32_e32 v32, 1, v23
	v_add_co_u32 v39, s1, s8, v39
	v_add_co_ci_u32_e64 v40, s1, s9, v40, s1
	v_lshlrev_b64 v[47:48], 3, v[32:33]
	v_add_co_u32 v43, s1, s8, v43
	global_load_dwordx4 v[39:42], v[39:40], off offset:720
	v_add_co_ci_u32_e64 v44, s1, s9, v44, s1
	v_add_co_u32 v47, s1, s8, v47
	v_add_co_ci_u32_e64 v48, s1, s9, v48, s1
	s_clause 0x1
	global_load_dwordx4 v[43:46], v[43:44], off offset:720
	global_load_dwordx4 v[47:50], v[47:48], off offset:720
	s_waitcnt vmcnt(0) lgkmcnt(0)
	s_barrier
	buffer_gl0_inv
	v_mul_f32_e32 v32, v40, v13
	v_mul_f32_e32 v40, v40, v12
	v_mul_f32_e32 v51, v42, v7
	v_mul_f32_e32 v42, v42, v6
	v_fmac_f32_e32 v32, v39, v12
	v_fma_f32 v12, v39, v13, -v40
	v_fmac_f32_e32 v51, v41, v6
	v_mul_f32_e32 v6, v44, v15
	v_mul_f32_e32 v13, v44, v14
	;; [unrolled: 1-line block ×4, first 2 shown]
	v_fma_f32 v7, v41, v7, -v42
	v_fmac_f32_e32 v6, v43, v14
	v_fma_f32 v13, v43, v15, -v13
	v_fmac_f32_e32 v39, v45, v8
	v_fma_f32 v9, v45, v9, -v40
	v_mul_f32_e32 v14, v48, v5
	v_mul_f32_e32 v8, v48, v4
	;; [unrolled: 1-line block ×4, first 2 shown]
	v_sub_f32_e32 v43, v12, v7
	v_add_f32_e32 v44, v31, v12
	v_add_f32_e32 v12, v12, v7
	;; [unrolled: 1-line block ×3, first 2 shown]
	v_fmac_f32_e32 v14, v47, v4
	v_fma_f32 v45, v47, v5, -v8
	v_fmac_f32_e32 v15, v49, v10
	v_fma_f32 v40, v49, v11, -v40
	v_fmac_f32_e32 v31, -0.5, v12
	v_sub_f32_e32 v11, v13, v9
	v_add_f32_e32 v12, v29, v13
	v_add_f32_e32 v13, v13, v9
	;; [unrolled: 1-line block ×4, first 2 shown]
	v_sub_f32_e32 v32, v32, v51
	v_fma_f32 v30, -0.5, v42, v30
	v_add_f32_e32 v8, v28, v6
	v_fmac_f32_e32 v29, -0.5, v13
	v_add_f32_e32 v13, v14, v15
	v_add_f32_e32 v42, v45, v40
	v_add_f32_e32 v4, v41, v51
	v_sub_f32_e32 v41, v6, v39
	v_fma_f32 v28, -0.5, v10, v28
	v_add_f32_e32 v5, v44, v7
	v_fmamk_f32 v6, v43, 0xbf5db3d7, v30
	v_fmamk_f32 v7, v32, 0x3f5db3d7, v31
	v_fmac_f32_e32 v31, 0xbf5db3d7, v32
	v_add_f32_e32 v8, v8, v39
	v_add_f32_e32 v9, v12, v9
	;; [unrolled: 1-line block ×3, first 2 shown]
	v_sub_f32_e32 v32, v45, v40
	v_add_f32_e32 v39, v27, v45
	v_sub_f32_e32 v14, v14, v15
	v_fma_f32 v26, -0.5, v13, v26
	v_fmac_f32_e32 v27, -0.5, v42
	v_fmac_f32_e32 v30, 0x3f5db3d7, v43
	v_fmamk_f32 v10, v11, 0xbf5db3d7, v28
	v_fmac_f32_e32 v28, 0x3f5db3d7, v11
	v_fmamk_f32 v11, v41, 0x3f5db3d7, v29
	v_fmac_f32_e32 v29, 0xbf5db3d7, v41
	v_add_f32_e32 v12, v12, v15
	v_add_f32_e32 v13, v39, v40
	ds_write2_b64 v35, v[4:5], v[6:7] offset1:100
	v_fmamk_f32 v4, v32, 0xbf5db3d7, v26
	v_fmamk_f32 v5, v14, 0x3f5db3d7, v27
	v_fmac_f32_e32 v26, 0x3f5db3d7, v32
	v_fmac_f32_e32 v27, 0xbf5db3d7, v14
	ds_write_b64 v35, v[30:31] offset:1600
	ds_write2_b64 v38, v[8:9], v[10:11] offset1:100
	ds_write_b64 v38, v[28:29] offset:1600
	ds_write2_b64 v37, v[12:13], v[4:5] offset1:100
	ds_write_b64 v37, v[26:27] offset:1600
	s_and_saveexec_b32 s1, s0
	s_cbranch_execz .LBB0_17
; %bb.16:
	v_add_nc_u32_e32 v4, -10, v16
	v_cndmask_b32_e64 v4, v4, v20, s0
	v_lshlrev_b32_e32 v32, 1, v4
	v_lshlrev_b64 v[4:5], 3, v[32:33]
	v_add_co_u32 v4, s0, s8, v4
	v_add_co_ci_u32_e64 v5, s0, s9, v5, s0
	global_load_dwordx4 v[4:7], v[4:5], off offset:720
	s_waitcnt vmcnt(0)
	v_mul_f32_e32 v8, v0, v5
	v_mul_f32_e32 v9, v2, v7
	;; [unrolled: 1-line block ×4, first 2 shown]
	v_fma_f32 v8, v1, v4, -v8
	v_fma_f32 v3, v3, v6, -v9
	v_fmac_f32_e32 v5, v0, v4
	v_fmac_f32_e32 v7, v2, v6
	v_add_f32_e32 v6, v25, v8
	v_add_f32_e32 v0, v8, v3
	v_sub_f32_e32 v8, v8, v3
	v_add_f32_e32 v2, v5, v7
	v_sub_f32_e32 v4, v5, v7
	v_add_f32_e32 v5, v24, v5
	v_fma_f32 v1, -0.5, v0, v25
	v_add_f32_e32 v3, v6, v3
	v_fma_f32 v0, -0.5, v2, v24
	v_add_f32_e32 v2, v5, v7
	v_fmamk_f32 v5, v4, 0xbf5db3d7, v1
	v_fmac_f32_e32 v1, 0x3f5db3d7, v4
	v_fmamk_f32 v4, v8, 0x3f5db3d7, v0
	v_fmac_f32_e32 v0, 0xbf5db3d7, v8
	ds_write2_b64 v35, v[2:3], v[0:1] offset0:90 offset1:190
	ds_write_b64 v35, v[4:5] offset:2320
.LBB0_17:
	s_or_b32 exec_lo, exec_lo, s1
	s_waitcnt lgkmcnt(0)
	s_barrier
	buffer_gl0_inv
	ds_read_b64 v[4:5], v34
	v_sub_nc_u32_e32 v6, v17, v22
	s_add_u32 s1, s8, 0x910
	s_addc_u32 s4, s9, 0
	s_mov_b32 s5, exec_lo
                                        ; implicit-def: $vgpr0
                                        ; implicit-def: $vgpr7
                                        ; implicit-def: $vgpr8
                                        ; implicit-def: $vgpr2_vgpr3
	v_cmpx_ne_u32_e32 0, v16
	s_xor_b32 s5, exec_lo, s5
	s_cbranch_execz .LBB0_19
; %bb.18:
	v_mov_b32_e32 v17, 0
	ds_read_b64 v[2:3], v6 offset:2400
	v_lshlrev_b64 v[0:1], 3, v[16:17]
	v_add_co_u32 v0, s0, s1, v0
	v_add_co_ci_u32_e64 v1, s0, s4, v1, s0
	global_load_dwordx2 v[0:1], v[0:1], off
	s_waitcnt lgkmcnt(0)
	v_sub_f32_e32 v7, v4, v2
	v_add_f32_e32 v8, v3, v5
	v_sub_f32_e32 v3, v5, v3
	v_add_f32_e32 v2, v2, v4
	v_mul_f32_e32 v5, 0.5, v7
	v_mul_f32_e32 v9, 0.5, v8
	;; [unrolled: 1-line block ×3, first 2 shown]
	s_waitcnt vmcnt(0)
	v_mul_f32_e32 v4, v1, v5
	v_fma_f32 v8, v9, v1, v3
	v_fma_f32 v1, v9, v1, -v3
	v_fma_f32 v7, 0.5, v2, v4
	v_fma_f32 v2, v2, 0.5, -v4
	v_fma_f32 v8, -v0, v5, v8
	v_fma_f32 v1, -v0, v5, v1
                                        ; implicit-def: $vgpr4_vgpr5
	v_fmac_f32_e32 v7, v0, v9
	v_fma_f32 v0, -v0, v9, v2
	v_mov_b32_e32 v2, v16
	v_mov_b32_e32 v3, v17
                                        ; implicit-def: $vgpr17
.LBB0_19:
	s_andn2_saveexec_b32 s0, s5
	s_cbranch_execz .LBB0_21
; %bb.20:
	ds_read_b32 v1, v17 offset:1204
	v_mov_b32_e32 v2, 0
	s_waitcnt lgkmcnt(1)
	v_add_f32_e32 v7, v4, v5
	v_sub_f32_e32 v0, v4, v5
	v_mov_b32_e32 v3, 0
	v_mov_b32_e32 v8, 0
	s_waitcnt lgkmcnt(0)
	v_xor_b32_e32 v4, 0x80000000, v1
	v_mov_b32_e32 v1, 0
	ds_write_b32 v17, v4 offset:1204
.LBB0_21:
	s_or_b32 exec_lo, exec_lo, s0
	v_mov_b32_e32 v22, 0
	v_lshlrev_b64 v[2:3], 3, v[2:3]
	s_waitcnt lgkmcnt(0)
	v_lshlrev_b64 v[4:5], 3, v[21:22]
	v_mov_b32_e32 v24, v22
	v_mov_b32_e32 v21, v22
	v_lshlrev_b64 v[9:10], 3, v[23:24]
	v_add_co_u32 v4, s0, s1, v4
	v_add_co_ci_u32_e64 v5, s0, s4, v5, s0
	v_lshlrev_b64 v[11:12], 3, v[20:21]
	v_add_co_u32 v9, s0, s1, v9
	global_load_dwordx2 v[4:5], v[4:5], off
	v_add_co_ci_u32_e64 v10, s0, s4, v10, s0
	v_add_co_u32 v11, s0, s1, v11
	v_add_co_ci_u32_e64 v12, s0, s4, v12, s0
	global_load_dwordx2 v[9:10], v[9:10], off
	v_add_co_u32 v13, s0, s1, v2
	global_load_dwordx2 v[11:12], v[11:12], off
	v_add_co_ci_u32_e64 v14, s0, s4, v3, s0
	global_load_dwordx2 v[13:14], v[13:14], off offset:960
	ds_write2_b32 v34, v7, v8 offset1:1
	ds_write_b64 v6, v[0:1] offset:2400
	ds_read_b64 v[0:1], v38
	ds_read_b64 v[7:8], v6 offset:2160
	s_waitcnt lgkmcnt(0)
	v_sub_f32_e32 v15, v0, v7
	v_add_f32_e32 v17, v1, v8
	v_sub_f32_e32 v1, v1, v8
	v_add_f32_e32 v0, v0, v7
	v_mul_f32_e32 v8, 0.5, v15
	v_mul_f32_e32 v15, 0.5, v17
	v_mul_f32_e32 v1, 0.5, v1
	s_waitcnt vmcnt(3)
	v_mul_f32_e32 v7, v5, v8
	v_fma_f32 v17, v15, v5, v1
	v_fma_f32 v1, v15, v5, -v1
	v_fma_f32 v5, 0.5, v0, v7
	v_fma_f32 v0, v0, 0.5, -v7
	v_fma_f32 v7, -v4, v8, v17
	v_fma_f32 v1, -v4, v8, v1
	v_fmac_f32_e32 v5, v4, v15
	v_fma_f32 v0, -v4, v15, v0
	ds_write2_b32 v38, v5, v7 offset1:1
	ds_write_b64 v6, v[0:1] offset:2160
	ds_read_b64 v[0:1], v37
	ds_read_b64 v[4:5], v6 offset:1920
	s_waitcnt lgkmcnt(0)
	v_sub_f32_e32 v7, v0, v4
	v_add_f32_e32 v8, v1, v5
	v_sub_f32_e32 v1, v1, v5
	v_add_f32_e32 v0, v0, v4
	v_mul_f32_e32 v5, 0.5, v7
	v_mul_f32_e32 v7, 0.5, v8
	v_mul_f32_e32 v1, 0.5, v1
	s_waitcnt vmcnt(2)
	v_mul_f32_e32 v4, v10, v5
	v_fma_f32 v8, v7, v10, v1
	v_fma_f32 v1, v7, v10, -v1
	v_fma_f32 v10, 0.5, v0, v4
	v_fma_f32 v0, v0, 0.5, -v4
	v_fma_f32 v4, -v9, v5, v8
	v_fma_f32 v1, -v9, v5, v1
	v_fmac_f32_e32 v10, v9, v7
	v_fma_f32 v0, -v9, v7, v0
	;; [unrolled: 22-line block ×3, first 2 shown]
	ds_write2_b32 v36, v9, v4 offset1:1
	ds_write_b64 v6, v[0:1] offset:1680
	ds_read_b64 v[0:1], v34 offset:960
	ds_read_b64 v[4:5], v6 offset:1440
	s_waitcnt lgkmcnt(0)
	v_sub_f32_e32 v7, v0, v4
	v_add_f32_e32 v8, v1, v5
	v_sub_f32_e32 v1, v1, v5
	v_add_f32_e32 v0, v0, v4
	v_mul_f32_e32 v5, 0.5, v7
	v_mul_f32_e32 v7, 0.5, v8
	;; [unrolled: 1-line block ×3, first 2 shown]
	s_waitcnt vmcnt(0)
	v_mul_f32_e32 v4, v14, v5
	v_fma_f32 v8, v7, v14, v1
	v_fma_f32 v1, v7, v14, -v1
	v_fma_f32 v9, 0.5, v0, v4
	v_fma_f32 v0, v0, 0.5, -v4
	v_fma_f32 v4, -v13, v5, v8
	v_fma_f32 v1, -v13, v5, v1
	v_fmac_f32_e32 v9, v13, v7
	v_fma_f32 v0, -v13, v7, v0
	ds_write2_b32 v34, v9, v4 offset0:240 offset1:241
	ds_write_b64 v6, v[0:1] offset:1440
	s_waitcnt lgkmcnt(0)
	s_barrier
	buffer_gl0_inv
	s_and_saveexec_b32 s0, vcc_lo
	s_cbranch_execz .LBB0_24
; %bb.22:
	ds_read2_b64 v[4:7], v34 offset1:30
	ds_read2_b64 v[8:11], v34 offset0:60 offset1:90
	ds_read2_b64 v[12:15], v34 offset0:120 offset1:150
	v_add_nc_u32_e32 v21, 0x400, v34
	v_add_co_u32 v0, vcc_lo, s2, v18
	v_add_co_ci_u32_e32 v1, vcc_lo, s3, v19, vcc_lo
	ds_read2_b64 v[17:20], v34 offset0:180 offset1:210
	ds_read2_b64 v[21:24], v21 offset0:112 offset1:142
	v_add_co_u32 v2, vcc_lo, v0, v2
	v_add_co_ci_u32_e32 v3, vcc_lo, v1, v3, vcc_lo
	s_waitcnt lgkmcnt(4)
	global_store_dwordx2 v[2:3], v[4:5], off
	global_store_dwordx2 v[2:3], v[6:7], off offset:240
	s_waitcnt lgkmcnt(3)
	global_store_dwordx2 v[2:3], v[8:9], off offset:480
	global_store_dwordx2 v[2:3], v[10:11], off offset:720
	s_waitcnt lgkmcnt(2)
	global_store_dwordx2 v[2:3], v[12:13], off offset:960
	global_store_dwordx2 v[2:3], v[14:15], off offset:1200
	v_add_co_u32 v4, vcc_lo, 0x800, v2
	v_add_co_ci_u32_e32 v5, vcc_lo, 0, v3, vcc_lo
	v_cmp_eq_u32_e32 vcc_lo, 29, v16
	s_waitcnt lgkmcnt(1)
	global_store_dwordx2 v[2:3], v[17:18], off offset:1440
	global_store_dwordx2 v[2:3], v[19:20], off offset:1680
	s_waitcnt lgkmcnt(0)
	global_store_dwordx2 v[2:3], v[21:22], off offset:1920
	global_store_dwordx2 v[4:5], v[23:24], off offset:112
	s_and_b32 exec_lo, exec_lo, vcc_lo
	s_cbranch_execz .LBB0_24
; %bb.23:
	ds_read_b64 v[2:3], v34 offset:2168
	v_add_co_u32 v0, vcc_lo, 0x800, v0
	v_add_co_ci_u32_e32 v1, vcc_lo, 0, v1, vcc_lo
	s_waitcnt lgkmcnt(0)
	global_store_dwordx2 v[0:1], v[2:3], off offset:352
.LBB0_24:
	s_endpgm
	.section	.rodata,"a",@progbits
	.p2align	6, 0x0
	.amdhsa_kernel fft_rtc_back_len300_factors_10_10_3_wgs_60_tpt_30_halfLds_sp_ip_CI_unitstride_sbrr_R2C_dirReg
		.amdhsa_group_segment_fixed_size 0
		.amdhsa_private_segment_fixed_size 0
		.amdhsa_kernarg_size 88
		.amdhsa_user_sgpr_count 6
		.amdhsa_user_sgpr_private_segment_buffer 1
		.amdhsa_user_sgpr_dispatch_ptr 0
		.amdhsa_user_sgpr_queue_ptr 0
		.amdhsa_user_sgpr_kernarg_segment_ptr 1
		.amdhsa_user_sgpr_dispatch_id 0
		.amdhsa_user_sgpr_flat_scratch_init 0
		.amdhsa_user_sgpr_private_segment_size 0
		.amdhsa_wavefront_size32 1
		.amdhsa_uses_dynamic_stack 0
		.amdhsa_system_sgpr_private_segment_wavefront_offset 0
		.amdhsa_system_sgpr_workgroup_id_x 1
		.amdhsa_system_sgpr_workgroup_id_y 0
		.amdhsa_system_sgpr_workgroup_id_z 0
		.amdhsa_system_sgpr_workgroup_info 0
		.amdhsa_system_vgpr_workitem_id 0
		.amdhsa_next_free_vgpr 59
		.amdhsa_next_free_sgpr 21
		.amdhsa_reserve_vcc 1
		.amdhsa_reserve_flat_scratch 0
		.amdhsa_float_round_mode_32 0
		.amdhsa_float_round_mode_16_64 0
		.amdhsa_float_denorm_mode_32 3
		.amdhsa_float_denorm_mode_16_64 3
		.amdhsa_dx10_clamp 1
		.amdhsa_ieee_mode 1
		.amdhsa_fp16_overflow 0
		.amdhsa_workgroup_processor_mode 1
		.amdhsa_memory_ordered 1
		.amdhsa_forward_progress 0
		.amdhsa_shared_vgpr_count 0
		.amdhsa_exception_fp_ieee_invalid_op 0
		.amdhsa_exception_fp_denorm_src 0
		.amdhsa_exception_fp_ieee_div_zero 0
		.amdhsa_exception_fp_ieee_overflow 0
		.amdhsa_exception_fp_ieee_underflow 0
		.amdhsa_exception_fp_ieee_inexact 0
		.amdhsa_exception_int_div_zero 0
	.end_amdhsa_kernel
	.text
.Lfunc_end0:
	.size	fft_rtc_back_len300_factors_10_10_3_wgs_60_tpt_30_halfLds_sp_ip_CI_unitstride_sbrr_R2C_dirReg, .Lfunc_end0-fft_rtc_back_len300_factors_10_10_3_wgs_60_tpt_30_halfLds_sp_ip_CI_unitstride_sbrr_R2C_dirReg
                                        ; -- End function
	.section	.AMDGPU.csdata,"",@progbits
; Kernel info:
; codeLenInByte = 5896
; NumSgprs: 23
; NumVgprs: 59
; ScratchSize: 0
; MemoryBound: 0
; FloatMode: 240
; IeeeMode: 1
; LDSByteSize: 0 bytes/workgroup (compile time only)
; SGPRBlocks: 2
; VGPRBlocks: 7
; NumSGPRsForWavesPerEU: 23
; NumVGPRsForWavesPerEU: 59
; Occupancy: 16
; WaveLimiterHint : 1
; COMPUTE_PGM_RSRC2:SCRATCH_EN: 0
; COMPUTE_PGM_RSRC2:USER_SGPR: 6
; COMPUTE_PGM_RSRC2:TRAP_HANDLER: 0
; COMPUTE_PGM_RSRC2:TGID_X_EN: 1
; COMPUTE_PGM_RSRC2:TGID_Y_EN: 0
; COMPUTE_PGM_RSRC2:TGID_Z_EN: 0
; COMPUTE_PGM_RSRC2:TIDIG_COMP_CNT: 0
	.text
	.p2alignl 6, 3214868480
	.fill 48, 4, 3214868480
	.type	__hip_cuid_63f5ffc6c71dd030,@object ; @__hip_cuid_63f5ffc6c71dd030
	.section	.bss,"aw",@nobits
	.globl	__hip_cuid_63f5ffc6c71dd030
__hip_cuid_63f5ffc6c71dd030:
	.byte	0                               ; 0x0
	.size	__hip_cuid_63f5ffc6c71dd030, 1

	.ident	"AMD clang version 19.0.0git (https://github.com/RadeonOpenCompute/llvm-project roc-6.4.0 25133 c7fe45cf4b819c5991fe208aaa96edf142730f1d)"
	.section	".note.GNU-stack","",@progbits
	.addrsig
	.addrsig_sym __hip_cuid_63f5ffc6c71dd030
	.amdgpu_metadata
---
amdhsa.kernels:
  - .args:
      - .actual_access:  read_only
        .address_space:  global
        .offset:         0
        .size:           8
        .value_kind:     global_buffer
      - .offset:         8
        .size:           8
        .value_kind:     by_value
      - .actual_access:  read_only
        .address_space:  global
        .offset:         16
        .size:           8
        .value_kind:     global_buffer
      - .actual_access:  read_only
        .address_space:  global
        .offset:         24
        .size:           8
        .value_kind:     global_buffer
      - .offset:         32
        .size:           8
        .value_kind:     by_value
      - .actual_access:  read_only
        .address_space:  global
        .offset:         40
        .size:           8
        .value_kind:     global_buffer
      - .actual_access:  read_only
        .address_space:  global
        .offset:         48
        .size:           8
        .value_kind:     global_buffer
      - .offset:         56
        .size:           4
        .value_kind:     by_value
      - .actual_access:  read_only
        .address_space:  global
        .offset:         64
        .size:           8
        .value_kind:     global_buffer
      - .actual_access:  read_only
        .address_space:  global
        .offset:         72
        .size:           8
        .value_kind:     global_buffer
      - .address_space:  global
        .offset:         80
        .size:           8
        .value_kind:     global_buffer
    .group_segment_fixed_size: 0
    .kernarg_segment_align: 8
    .kernarg_segment_size: 88
    .language:       OpenCL C
    .language_version:
      - 2
      - 0
    .max_flat_workgroup_size: 60
    .name:           fft_rtc_back_len300_factors_10_10_3_wgs_60_tpt_30_halfLds_sp_ip_CI_unitstride_sbrr_R2C_dirReg
    .private_segment_fixed_size: 0
    .sgpr_count:     23
    .sgpr_spill_count: 0
    .symbol:         fft_rtc_back_len300_factors_10_10_3_wgs_60_tpt_30_halfLds_sp_ip_CI_unitstride_sbrr_R2C_dirReg.kd
    .uniform_work_group_size: 1
    .uses_dynamic_stack: false
    .vgpr_count:     59
    .vgpr_spill_count: 0
    .wavefront_size: 32
    .workgroup_processor_mode: 1
amdhsa.target:   amdgcn-amd-amdhsa--gfx1030
amdhsa.version:
  - 1
  - 2
...

	.end_amdgpu_metadata
